;; amdgpu-corpus repo=ROCm/rocFFT kind=compiled arch=gfx1201 opt=O3
	.text
	.amdgcn_target "amdgcn-amd-amdhsa--gfx1201"
	.amdhsa_code_object_version 6
	.protected	fft_rtc_fwd_len1050_factors_2_3_5_5_7_wgs_210_tpt_210_dp_ip_CI_sbrr_dirReg ; -- Begin function fft_rtc_fwd_len1050_factors_2_3_5_5_7_wgs_210_tpt_210_dp_ip_CI_sbrr_dirReg
	.globl	fft_rtc_fwd_len1050_factors_2_3_5_5_7_wgs_210_tpt_210_dp_ip_CI_sbrr_dirReg
	.p2align	8
	.type	fft_rtc_fwd_len1050_factors_2_3_5_5_7_wgs_210_tpt_210_dp_ip_CI_sbrr_dirReg,@function
fft_rtc_fwd_len1050_factors_2_3_5_5_7_wgs_210_tpt_210_dp_ip_CI_sbrr_dirReg: ; @fft_rtc_fwd_len1050_factors_2_3_5_5_7_wgs_210_tpt_210_dp_ip_CI_sbrr_dirReg
; %bb.0:
	s_clause 0x2
	s_load_b64 s[12:13], s[0:1], 0x18
	s_load_b128 s[4:7], s[0:1], 0x0
	s_load_b64 s[8:9], s[0:1], 0x50
	v_mul_u32_u24_e32 v1, 0x139, v0
	v_mov_b32_e32 v3, 0
	s_delay_alu instid0(VALU_DEP_2) | instskip(NEXT) | instid1(VALU_DEP_1)
	v_lshrrev_b32_e32 v1, 16, v1
	v_add_nc_u32_e32 v5, ttmp9, v1
	v_mov_b32_e32 v1, 0
	v_mov_b32_e32 v2, 0
	;; [unrolled: 1-line block ×3, first 2 shown]
	s_wait_kmcnt 0x0
	s_load_b64 s[10:11], s[12:13], 0x0
	v_cmp_lt_u64_e64 s2, s[6:7], 2
	s_delay_alu instid0(VALU_DEP_1)
	s_and_b32 vcc_lo, exec_lo, s2
	s_cbranch_vccnz .LBB0_8
; %bb.1:
	s_load_b64 s[2:3], s[0:1], 0x10
	v_mov_b32_e32 v1, 0
	v_mov_b32_e32 v2, 0
	s_add_nc_u64 s[14:15], s[12:13], 8
	s_mov_b64 s[16:17], 1
	s_wait_kmcnt 0x0
	s_add_nc_u64 s[18:19], s[2:3], 8
	s_mov_b32 s3, 0
.LBB0_2:                                ; =>This Inner Loop Header: Depth=1
	s_load_b64 s[20:21], s[18:19], 0x0
                                        ; implicit-def: $vgpr7_vgpr8
	s_mov_b32 s2, exec_lo
	s_wait_kmcnt 0x0
	v_or_b32_e32 v4, s21, v6
	s_delay_alu instid0(VALU_DEP_1)
	v_cmpx_ne_u64_e32 0, v[3:4]
	s_wait_alu 0xfffe
	s_xor_b32 s22, exec_lo, s2
	s_cbranch_execz .LBB0_4
; %bb.3:                                ;   in Loop: Header=BB0_2 Depth=1
	s_cvt_f32_u32 s2, s20
	s_cvt_f32_u32 s23, s21
	s_sub_nc_u64 s[26:27], 0, s[20:21]
	s_wait_alu 0xfffe
	s_delay_alu instid0(SALU_CYCLE_1) | instskip(SKIP_1) | instid1(SALU_CYCLE_2)
	s_fmamk_f32 s2, s23, 0x4f800000, s2
	s_wait_alu 0xfffe
	v_s_rcp_f32 s2, s2
	s_delay_alu instid0(TRANS32_DEP_1) | instskip(SKIP_1) | instid1(SALU_CYCLE_2)
	s_mul_f32 s2, s2, 0x5f7ffffc
	s_wait_alu 0xfffe
	s_mul_f32 s23, s2, 0x2f800000
	s_wait_alu 0xfffe
	s_delay_alu instid0(SALU_CYCLE_2) | instskip(SKIP_1) | instid1(SALU_CYCLE_2)
	s_trunc_f32 s23, s23
	s_wait_alu 0xfffe
	s_fmamk_f32 s2, s23, 0xcf800000, s2
	s_cvt_u32_f32 s25, s23
	s_wait_alu 0xfffe
	s_delay_alu instid0(SALU_CYCLE_1) | instskip(SKIP_1) | instid1(SALU_CYCLE_2)
	s_cvt_u32_f32 s24, s2
	s_wait_alu 0xfffe
	s_mul_u64 s[28:29], s[26:27], s[24:25]
	s_wait_alu 0xfffe
	s_mul_hi_u32 s31, s24, s29
	s_mul_i32 s30, s24, s29
	s_mul_hi_u32 s2, s24, s28
	s_mul_i32 s33, s25, s28
	s_wait_alu 0xfffe
	s_add_nc_u64 s[30:31], s[2:3], s[30:31]
	s_mul_hi_u32 s23, s25, s28
	s_mul_hi_u32 s34, s25, s29
	s_add_co_u32 s2, s30, s33
	s_wait_alu 0xfffe
	s_add_co_ci_u32 s2, s31, s23
	s_mul_i32 s28, s25, s29
	s_add_co_ci_u32 s29, s34, 0
	s_wait_alu 0xfffe
	s_add_nc_u64 s[28:29], s[2:3], s[28:29]
	s_wait_alu 0xfffe
	v_add_co_u32 v4, s2, s24, s28
	s_delay_alu instid0(VALU_DEP_1) | instskip(SKIP_1) | instid1(VALU_DEP_1)
	s_cmp_lg_u32 s2, 0
	s_add_co_ci_u32 s25, s25, s29
	v_readfirstlane_b32 s24, v4
	s_wait_alu 0xfffe
	s_delay_alu instid0(VALU_DEP_1)
	s_mul_u64 s[26:27], s[26:27], s[24:25]
	s_wait_alu 0xfffe
	s_mul_hi_u32 s29, s24, s27
	s_mul_i32 s28, s24, s27
	s_mul_hi_u32 s2, s24, s26
	s_mul_i32 s30, s25, s26
	s_wait_alu 0xfffe
	s_add_nc_u64 s[28:29], s[2:3], s[28:29]
	s_mul_hi_u32 s23, s25, s26
	s_mul_hi_u32 s24, s25, s27
	s_wait_alu 0xfffe
	s_add_co_u32 s2, s28, s30
	s_add_co_ci_u32 s2, s29, s23
	s_mul_i32 s26, s25, s27
	s_add_co_ci_u32 s27, s24, 0
	s_wait_alu 0xfffe
	s_add_nc_u64 s[26:27], s[2:3], s[26:27]
	s_wait_alu 0xfffe
	v_add_co_u32 v4, s2, v4, s26
	s_delay_alu instid0(VALU_DEP_1) | instskip(SKIP_1) | instid1(VALU_DEP_1)
	s_cmp_lg_u32 s2, 0
	s_add_co_ci_u32 s2, s25, s27
	v_mul_hi_u32 v13, v5, v4
	s_wait_alu 0xfffe
	v_mad_co_u64_u32 v[7:8], null, v5, s2, 0
	v_mad_co_u64_u32 v[9:10], null, v6, v4, 0
	;; [unrolled: 1-line block ×3, first 2 shown]
	s_delay_alu instid0(VALU_DEP_3) | instskip(SKIP_1) | instid1(VALU_DEP_4)
	v_add_co_u32 v4, vcc_lo, v13, v7
	s_wait_alu 0xfffd
	v_add_co_ci_u32_e32 v7, vcc_lo, 0, v8, vcc_lo
	s_delay_alu instid0(VALU_DEP_2) | instskip(SKIP_1) | instid1(VALU_DEP_2)
	v_add_co_u32 v4, vcc_lo, v4, v9
	s_wait_alu 0xfffd
	v_add_co_ci_u32_e32 v4, vcc_lo, v7, v10, vcc_lo
	s_wait_alu 0xfffd
	v_add_co_ci_u32_e32 v7, vcc_lo, 0, v12, vcc_lo
	s_delay_alu instid0(VALU_DEP_2) | instskip(SKIP_1) | instid1(VALU_DEP_2)
	v_add_co_u32 v4, vcc_lo, v4, v11
	s_wait_alu 0xfffd
	v_add_co_ci_u32_e32 v9, vcc_lo, 0, v7, vcc_lo
	s_delay_alu instid0(VALU_DEP_2) | instskip(SKIP_1) | instid1(VALU_DEP_3)
	v_mul_lo_u32 v10, s21, v4
	v_mad_co_u64_u32 v[7:8], null, s20, v4, 0
	v_mul_lo_u32 v11, s20, v9
	s_delay_alu instid0(VALU_DEP_2) | instskip(NEXT) | instid1(VALU_DEP_2)
	v_sub_co_u32 v7, vcc_lo, v5, v7
	v_add3_u32 v8, v8, v11, v10
	s_delay_alu instid0(VALU_DEP_1) | instskip(SKIP_1) | instid1(VALU_DEP_1)
	v_sub_nc_u32_e32 v10, v6, v8
	s_wait_alu 0xfffd
	v_subrev_co_ci_u32_e64 v10, s2, s21, v10, vcc_lo
	v_add_co_u32 v11, s2, v4, 2
	s_wait_alu 0xf1ff
	v_add_co_ci_u32_e64 v12, s2, 0, v9, s2
	v_sub_co_u32 v13, s2, v7, s20
	v_sub_co_ci_u32_e32 v8, vcc_lo, v6, v8, vcc_lo
	s_wait_alu 0xf1ff
	v_subrev_co_ci_u32_e64 v10, s2, 0, v10, s2
	s_delay_alu instid0(VALU_DEP_3) | instskip(NEXT) | instid1(VALU_DEP_3)
	v_cmp_le_u32_e32 vcc_lo, s20, v13
	v_cmp_eq_u32_e64 s2, s21, v8
	s_wait_alu 0xfffd
	v_cndmask_b32_e64 v13, 0, -1, vcc_lo
	v_cmp_le_u32_e32 vcc_lo, s21, v10
	s_wait_alu 0xfffd
	v_cndmask_b32_e64 v14, 0, -1, vcc_lo
	v_cmp_le_u32_e32 vcc_lo, s20, v7
	;; [unrolled: 3-line block ×3, first 2 shown]
	s_wait_alu 0xfffd
	v_cndmask_b32_e64 v15, 0, -1, vcc_lo
	v_cmp_eq_u32_e32 vcc_lo, s21, v10
	s_wait_alu 0xf1ff
	s_delay_alu instid0(VALU_DEP_2)
	v_cndmask_b32_e64 v7, v15, v7, s2
	s_wait_alu 0xfffd
	v_cndmask_b32_e32 v10, v14, v13, vcc_lo
	v_add_co_u32 v13, vcc_lo, v4, 1
	s_wait_alu 0xfffd
	v_add_co_ci_u32_e32 v14, vcc_lo, 0, v9, vcc_lo
	s_delay_alu instid0(VALU_DEP_3) | instskip(SKIP_2) | instid1(VALU_DEP_3)
	v_cmp_ne_u32_e32 vcc_lo, 0, v10
	s_wait_alu 0xfffd
	v_cndmask_b32_e32 v10, v13, v11, vcc_lo
	v_cndmask_b32_e32 v8, v14, v12, vcc_lo
	v_cmp_ne_u32_e32 vcc_lo, 0, v7
	s_wait_alu 0xfffd
	s_delay_alu instid0(VALU_DEP_2)
	v_dual_cndmask_b32 v7, v4, v10 :: v_dual_cndmask_b32 v8, v9, v8
.LBB0_4:                                ;   in Loop: Header=BB0_2 Depth=1
	s_wait_alu 0xfffe
	s_and_not1_saveexec_b32 s2, s22
	s_cbranch_execz .LBB0_6
; %bb.5:                                ;   in Loop: Header=BB0_2 Depth=1
	v_cvt_f32_u32_e32 v4, s20
	s_sub_co_i32 s22, 0, s20
	s_delay_alu instid0(VALU_DEP_1) | instskip(NEXT) | instid1(TRANS32_DEP_1)
	v_rcp_iflag_f32_e32 v4, v4
	v_mul_f32_e32 v4, 0x4f7ffffe, v4
	s_delay_alu instid0(VALU_DEP_1) | instskip(SKIP_1) | instid1(VALU_DEP_1)
	v_cvt_u32_f32_e32 v4, v4
	s_wait_alu 0xfffe
	v_mul_lo_u32 v7, s22, v4
	s_delay_alu instid0(VALU_DEP_1) | instskip(NEXT) | instid1(VALU_DEP_1)
	v_mul_hi_u32 v7, v4, v7
	v_add_nc_u32_e32 v4, v4, v7
	s_delay_alu instid0(VALU_DEP_1) | instskip(NEXT) | instid1(VALU_DEP_1)
	v_mul_hi_u32 v4, v5, v4
	v_mul_lo_u32 v7, v4, s20
	v_add_nc_u32_e32 v8, 1, v4
	s_delay_alu instid0(VALU_DEP_2) | instskip(NEXT) | instid1(VALU_DEP_1)
	v_sub_nc_u32_e32 v7, v5, v7
	v_subrev_nc_u32_e32 v9, s20, v7
	v_cmp_le_u32_e32 vcc_lo, s20, v7
	s_wait_alu 0xfffd
	s_delay_alu instid0(VALU_DEP_2) | instskip(NEXT) | instid1(VALU_DEP_1)
	v_dual_cndmask_b32 v7, v7, v9 :: v_dual_cndmask_b32 v4, v4, v8
	v_cmp_le_u32_e32 vcc_lo, s20, v7
	s_delay_alu instid0(VALU_DEP_2) | instskip(SKIP_1) | instid1(VALU_DEP_1)
	v_add_nc_u32_e32 v8, 1, v4
	s_wait_alu 0xfffd
	v_dual_cndmask_b32 v7, v4, v8 :: v_dual_mov_b32 v8, v3
.LBB0_6:                                ;   in Loop: Header=BB0_2 Depth=1
	s_wait_alu 0xfffe
	s_or_b32 exec_lo, exec_lo, s2
	s_load_b64 s[22:23], s[14:15], 0x0
	s_delay_alu instid0(VALU_DEP_1)
	v_mul_lo_u32 v4, v8, s20
	v_mul_lo_u32 v11, v7, s21
	v_mad_co_u64_u32 v[9:10], null, v7, s20, 0
	s_add_nc_u64 s[16:17], s[16:17], 1
	s_add_nc_u64 s[14:15], s[14:15], 8
	s_wait_alu 0xfffe
	v_cmp_ge_u64_e64 s2, s[16:17], s[6:7]
	s_add_nc_u64 s[18:19], s[18:19], 8
	s_delay_alu instid0(VALU_DEP_2) | instskip(NEXT) | instid1(VALU_DEP_3)
	v_add3_u32 v4, v10, v11, v4
	v_sub_co_u32 v5, vcc_lo, v5, v9
	s_wait_alu 0xfffd
	s_delay_alu instid0(VALU_DEP_2) | instskip(SKIP_3) | instid1(VALU_DEP_2)
	v_sub_co_ci_u32_e32 v4, vcc_lo, v6, v4, vcc_lo
	s_and_b32 vcc_lo, exec_lo, s2
	s_wait_kmcnt 0x0
	v_mul_lo_u32 v6, s23, v5
	v_mul_lo_u32 v4, s22, v4
	v_mad_co_u64_u32 v[1:2], null, s22, v5, v[1:2]
	s_delay_alu instid0(VALU_DEP_1)
	v_add3_u32 v2, v6, v2, v4
	s_wait_alu 0xfffe
	s_cbranch_vccnz .LBB0_9
; %bb.7:                                ;   in Loop: Header=BB0_2 Depth=1
	v_dual_mov_b32 v5, v7 :: v_dual_mov_b32 v6, v8
	s_branch .LBB0_2
.LBB0_8:
	v_dual_mov_b32 v8, v6 :: v_dual_mov_b32 v7, v5
.LBB0_9:
	s_lshl_b64 s[2:3], s[6:7], 3
	v_mul_hi_u32 v3, 0x1381382, v0
	s_wait_alu 0xfffe
	s_add_nc_u64 s[2:3], s[12:13], s[2:3]
	s_load_b64 s[2:3], s[2:3], 0x0
	s_load_b64 s[0:1], s[0:1], 0x20
	s_delay_alu instid0(VALU_DEP_1) | instskip(NEXT) | instid1(VALU_DEP_1)
	v_mul_u32_u24_e32 v3, 0xd2, v3
	v_sub_nc_u32_e32 v30, v0, v3
	s_delay_alu instid0(VALU_DEP_1)
	v_add_nc_u32_e32 v25, 0xd2, v30
	s_wait_kmcnt 0x0
	v_mul_lo_u32 v4, s2, v8
	v_mul_lo_u32 v5, s3, v7
	v_mad_co_u64_u32 v[1:2], null, s2, v7, v[1:2]
	v_cmp_gt_u64_e32 vcc_lo, s[0:1], v[7:8]
	v_cmp_le_u64_e64 s0, s[0:1], v[7:8]
	s_delay_alu instid0(VALU_DEP_3) | instskip(NEXT) | instid1(VALU_DEP_2)
	v_add3_u32 v2, v5, v2, v4
	s_and_saveexec_b32 s1, s0
	s_wait_alu 0xfffe
	s_xor_b32 s0, exec_lo, s1
; %bb.10:
	v_add_nc_u32_e32 v25, 0xd2, v30
; %bb.11:
	s_wait_alu 0xfffe
	s_or_saveexec_b32 s1, s0
	v_lshlrev_b64_e32 v[28:29], 4, v[1:2]
                                        ; implicit-def: $vgpr22_vgpr23
                                        ; implicit-def: $vgpr18_vgpr19
                                        ; implicit-def: $vgpr6_vgpr7
                                        ; implicit-def: $vgpr2_vgpr3
                                        ; implicit-def: $vgpr10_vgpr11
                                        ; implicit-def: $vgpr14_vgpr15
	s_wait_alu 0xfffe
	s_xor_b32 exec_lo, exec_lo, s1
	s_cbranch_execz .LBB0_15
; %bb.12:
	v_mad_co_u64_u32 v[4:5], null, s10, v25, 0
	v_add_nc_u32_e32 v10, 0x20d, v30
	v_mad_co_u64_u32 v[0:1], null, s10, v30, 0
	v_add_nc_u32_e32 v12, 0x2df, v30
	v_add_co_u32 v18, s0, s8, v28
	s_delay_alu instid0(VALU_DEP_4) | instskip(NEXT) | instid1(VALU_DEP_3)
	v_mad_co_u64_u32 v[2:3], null, s10, v10, 0
	v_mad_co_u64_u32 v[6:7], null, s10, v12, 0
	s_wait_alu 0xf1ff
	v_add_co_ci_u32_e64 v19, s0, s9, v29, s0
	s_mov_b32 s2, exec_lo
                                        ; implicit-def: $vgpr16_vgpr17
                                        ; implicit-def: $vgpr20_vgpr21
	s_delay_alu instid0(VALU_DEP_3) | instskip(SKIP_1) | instid1(VALU_DEP_4)
	v_mad_co_u64_u32 v[8:9], null, s11, v30, v[1:2]
	v_mov_b32_e32 v1, v5
	v_mov_b32_e32 v5, v7
	v_mad_co_u64_u32 v[9:10], null, s11, v10, v[3:4]
	s_delay_alu instid0(VALU_DEP_3) | instskip(SKIP_1) | instid1(VALU_DEP_4)
	v_mad_co_u64_u32 v[10:11], null, s11, v25, v[1:2]
	v_mov_b32_e32 v1, v8
	v_mad_co_u64_u32 v[7:8], null, s11, v12, v[5:6]
	s_delay_alu instid0(VALU_DEP_4) | instskip(NEXT) | instid1(VALU_DEP_3)
	v_mov_b32_e32 v3, v9
	v_lshlrev_b64_e32 v[0:1], 4, v[0:1]
	v_mov_b32_e32 v5, v10
	s_delay_alu instid0(VALU_DEP_3) | instskip(SKIP_1) | instid1(VALU_DEP_4)
	v_lshlrev_b64_e32 v[2:3], 4, v[2:3]
	v_lshlrev_b64_e32 v[6:7], 4, v[6:7]
	v_add_co_u32 v0, s0, v18, v0
	s_delay_alu instid0(VALU_DEP_4)
	v_lshlrev_b64_e32 v[4:5], 4, v[4:5]
	s_wait_alu 0xf1ff
	v_add_co_ci_u32_e64 v1, s0, v19, v1, s0
	v_add_co_u32 v2, s0, v18, v2
	s_wait_alu 0xf1ff
	v_add_co_ci_u32_e64 v3, s0, v19, v3, s0
	v_add_co_u32 v4, s0, v18, v4
	;; [unrolled: 3-line block ×3, first 2 shown]
	s_wait_alu 0xf1ff
	v_add_co_ci_u32_e64 v7, s0, v19, v7, s0
	s_clause 0x3
	global_load_b128 v[12:15], v[0:1], off
	global_load_b128 v[8:11], v[2:3], off
	;; [unrolled: 1-line block ×4, first 2 shown]
	v_cmpx_gt_u32_e32 0x69, v30
	s_cbranch_execz .LBB0_14
; %bb.13:
	v_add_nc_u32_e32 v22, 0x1a4, v30
	s_delay_alu instid0(VALU_DEP_1) | instskip(NEXT) | instid1(VALU_DEP_1)
	v_mad_co_u64_u32 v[16:17], null, s10, v22, 0
	v_mad_co_u64_u32 v[22:23], null, s11, v22, v[17:18]
	s_delay_alu instid0(VALU_DEP_1) | instskip(NEXT) | instid1(VALU_DEP_1)
	v_dual_mov_b32 v17, v22 :: v_dual_add_nc_u32 v24, 0x3b1, v30
	v_mad_co_u64_u32 v[20:21], null, s10, v24, 0
	s_delay_alu instid0(VALU_DEP_2) | instskip(NEXT) | instid1(VALU_DEP_2)
	v_lshlrev_b64_e32 v[16:17], 4, v[16:17]
	v_mad_co_u64_u32 v[23:24], null, s11, v24, v[21:22]
	s_delay_alu instid0(VALU_DEP_2) | instskip(SKIP_1) | instid1(VALU_DEP_3)
	v_add_co_u32 v16, s0, v18, v16
	s_wait_alu 0xf1ff
	v_add_co_ci_u32_e64 v17, s0, v19, v17, s0
	s_delay_alu instid0(VALU_DEP_3) | instskip(NEXT) | instid1(VALU_DEP_1)
	v_mov_b32_e32 v21, v23
	v_lshlrev_b64_e32 v[20:21], 4, v[20:21]
	s_delay_alu instid0(VALU_DEP_1) | instskip(SKIP_1) | instid1(VALU_DEP_2)
	v_add_co_u32 v20, s0, v18, v20
	s_wait_alu 0xf1ff
	v_add_co_ci_u32_e64 v21, s0, v19, v21, s0
	s_clause 0x1
	global_load_b128 v[16:19], v[16:17], off
	global_load_b128 v[20:23], v[20:21], off
.LBB0_14:
	s_wait_alu 0xfffe
	s_or_b32 exec_lo, exec_lo, s2
.LBB0_15:
	s_delay_alu instid0(SALU_CYCLE_1)
	s_or_b32 exec_lo, exec_lo, s1
	s_wait_loadcnt 0x2
	v_add_f64_e64 v[31:32], v[12:13], -v[8:9]
	v_add_f64_e64 v[33:34], v[14:15], -v[10:11]
	s_wait_loadcnt 0x0
	v_add_f64_e64 v[4:5], v[0:1], -v[4:5]
	v_add_f64_e64 v[6:7], v[2:3], -v[6:7]
	;; [unrolled: 1-line block ×4, first 2 shown]
	v_lshl_add_u32 v24, v30, 5, 0
	v_lshl_add_u32 v26, v25, 5, 0
	s_mov_b32 s1, exec_lo
	v_fma_f64 v[12:13], v[12:13], 2.0, -v[31:32]
	v_fma_f64 v[14:15], v[14:15], 2.0, -v[33:34]
	;; [unrolled: 1-line block ×6, first 2 shown]
	ds_store_b128 v24, v[12:15]
	ds_store_b128 v24, v[31:34] offset:16
	ds_store_b128 v26, v[20:23]
	ds_store_b128 v26, v[4:7] offset:16
	v_cmpx_gt_u32_e32 0x69, v30
	s_cbranch_execz .LBB0_17
; %bb.16:
	ds_store_b128 v24, v[0:3] offset:13440
	ds_store_b128 v24, v[8:11] offset:13456
.LBB0_17:
	s_wait_alu 0xfffe
	s_or_b32 exec_lo, exec_lo, s1
	v_lshlrev_b32_e32 v27, 4, v30
	global_wb scope:SCOPE_SE
	s_wait_dscnt 0x0
	s_barrier_signal -1
	s_barrier_wait -1
	global_inv scope:SCOPE_SE
	v_sub_nc_u32_e32 v16, v24, v27
	v_sub_nc_u32_e32 v27, 0, v27
	v_cmp_gt_u32_e64 s0, 0x8c, v30
	ds_load_b128 v[12:15], v16
	ds_load_b128 v[20:23], v16 offset:5600
	ds_load_b128 v[16:19], v16 offset:11200
	v_add_nc_u32_e32 v24, v24, v27
	v_lshlrev_b32_e32 v27, 4, v25
	s_and_saveexec_b32 s1, s0
	s_cbranch_execz .LBB0_19
; %bb.18:
	s_delay_alu instid0(VALU_DEP_1)
	v_sub_nc_u32_e32 v0, v26, v27
	ds_load_b128 v[4:7], v0
	ds_load_b128 v[0:3], v24 offset:8960
	ds_load_b128 v[8:11], v24 offset:14560
.LBB0_19:
	s_wait_alu 0xfffe
	s_or_b32 exec_lo, exec_lo, s1
	v_and_b32_e32 v31, 1, v30
	s_mov_b32 s2, 0xe8584caa
	s_mov_b32 s3, 0x3febb67a
	;; [unrolled: 1-line block ×3, first 2 shown]
	s_wait_alu 0xfffe
	s_mov_b32 s6, s2
	v_lshlrev_b32_e32 v36, 5, v31
	s_clause 0x1
	global_load_b128 v[32:35], v36, s[4:5]
	global_load_b128 v[36:39], v36, s[4:5] offset:16
	global_wb scope:SCOPE_SE
	s_wait_loadcnt_dscnt 0x0
	s_barrier_signal -1
	s_barrier_wait -1
	global_inv scope:SCOPE_SE
	v_mul_f64_e32 v[40:41], v[22:23], v[34:35]
	v_mul_f64_e32 v[42:43], v[20:21], v[34:35]
	v_mul_f64_e32 v[44:45], v[18:19], v[38:39]
	v_mul_f64_e32 v[46:47], v[16:17], v[38:39]
	v_mul_f64_e32 v[48:49], v[2:3], v[34:35]
	v_mul_f64_e32 v[34:35], v[0:1], v[34:35]
	v_mul_f64_e32 v[50:51], v[10:11], v[38:39]
	v_mul_f64_e32 v[38:39], v[8:9], v[38:39]
	v_fma_f64 v[20:21], v[20:21], v[32:33], -v[40:41]
	v_fma_f64 v[22:23], v[22:23], v[32:33], v[42:43]
	v_fma_f64 v[40:41], v[16:17], v[36:37], -v[44:45]
	v_fma_f64 v[42:43], v[18:19], v[36:37], v[46:47]
	;; [unrolled: 2-line block ×4, first 2 shown]
	v_add_f64_e32 v[36:37], v[12:13], v[20:21]
	v_add_f64_e32 v[44:45], v[14:15], v[22:23]
	;; [unrolled: 1-line block ×4, first 2 shown]
	v_add_f64_e64 v[38:39], v[22:23], -v[42:43]
	v_add_f64_e64 v[46:47], v[20:21], -v[40:41]
	v_add_f64_e32 v[32:33], v[16:17], v[8:9]
	v_add_f64_e32 v[34:35], v[18:19], v[10:11]
	v_add_f64_e64 v[20:21], v[18:19], -v[10:11]
	v_add_f64_e64 v[22:23], v[16:17], -v[8:9]
	v_fma_f64 v[0:1], v[0:1], -0.5, v[12:13]
	v_fma_f64 v[2:3], v[2:3], -0.5, v[14:15]
	v_fma_f64 v[12:13], v[32:33], -0.5, v[4:5]
	v_fma_f64 v[14:15], v[34:35], -0.5, v[6:7]
	v_add_f64_e32 v[32:33], v[36:37], v[40:41]
	v_add_f64_e32 v[34:35], v[44:45], v[42:43]
	v_lshrrev_b32_e32 v44, 1, v30
	s_delay_alu instid0(VALU_DEP_1) | instskip(NEXT) | instid1(VALU_DEP_1)
	v_mul_u32_u24_e32 v44, 6, v44
	v_or_b32_e32 v44, v44, v31
	s_delay_alu instid0(VALU_DEP_1)
	v_lshl_add_u32 v44, v44, 4, 0
	v_fma_f64 v[36:37], v[38:39], s[2:3], v[0:1]
	s_wait_alu 0xfffe
	v_fma_f64 v[40:41], v[38:39], s[6:7], v[0:1]
	v_fma_f64 v[38:39], v[46:47], s[6:7], v[2:3]
	;; [unrolled: 1-line block ×5, first 2 shown]
	ds_store_b128 v44, v[32:35]
	ds_store_b128 v44, v[36:39] offset:32
	ds_store_b128 v44, v[40:43] offset:64
	s_and_saveexec_b32 s1, s0
	s_cbranch_execz .LBB0_21
; %bb.20:
	v_add_f64_e32 v[18:19], v[6:7], v[18:19]
	v_add_f64_e32 v[4:5], v[4:5], v[16:17]
	v_mul_f64_e32 v[22:23], s[2:3], v[22:23]
	v_mul_f64_e32 v[16:17], s[2:3], v[20:21]
	s_delay_alu instid0(VALU_DEP_4) | instskip(NEXT) | instid1(VALU_DEP_4)
	v_add_f64_e32 v[10:11], v[18:19], v[10:11]
	v_add_f64_e32 v[8:9], v[4:5], v[8:9]
	s_delay_alu instid0(VALU_DEP_4) | instskip(NEXT) | instid1(VALU_DEP_4)
	v_add_f64_e64 v[6:7], v[14:15], -v[22:23]
	v_add_f64_e32 v[4:5], v[16:17], v[12:13]
	v_lshrrev_b32_e32 v12, 1, v25
	s_delay_alu instid0(VALU_DEP_1) | instskip(NEXT) | instid1(VALU_DEP_1)
	v_mul_lo_u32 v12, v12, 6
	v_or_b32_e32 v12, v12, v31
	s_delay_alu instid0(VALU_DEP_1)
	v_lshl_add_u32 v12, v12, 4, 0
	ds_store_b128 v12, v[8:11]
	ds_store_b128 v12, v[4:7] offset:32
	ds_store_b128 v12, v[0:3] offset:64
.LBB0_21:
	s_wait_alu 0xfffe
	s_or_b32 exec_lo, exec_lo, s1
	v_and_b32_e32 v61, 0xff, v30
	global_wb scope:SCOPE_SE
	s_wait_dscnt 0x0
	s_barrier_signal -1
	s_barrier_wait -1
	global_inv scope:SCOPE_SE
	v_mul_lo_u16 v4, 0xab, v61
	v_sub_nc_u32_e32 v27, v26, v27
	s_mov_b32 s0, 0x134454ff
	s_mov_b32 s1, 0x3fee6f0e
	;; [unrolled: 1-line block ×3, first 2 shown]
	v_lshrrev_b16 v62, 10, v4
	s_wait_alu 0xfffe
	s_mov_b32 s2, s0
	s_mov_b32 s6, 0x4755a5e
	;; [unrolled: 1-line block ×4, first 2 shown]
	v_mul_lo_u16 v4, v62, 6
	s_wait_alu 0xfffe
	s_mov_b32 s12, s6
	s_mov_b32 s14, 0x372fe950
	;; [unrolled: 1-line block ×3, first 2 shown]
	v_sub_nc_u16 v4, v30, v4
	s_delay_alu instid0(VALU_DEP_1) | instskip(NEXT) | instid1(VALU_DEP_1)
	v_and_b32_e32 v63, 0xff, v4
	v_lshlrev_b32_e32 v16, 6, v63
	s_clause 0x3
	global_load_b128 v[4:7], v16, s[4:5] offset:64
	global_load_b128 v[8:11], v16, s[4:5] offset:80
	;; [unrolled: 1-line block ×4, first 2 shown]
	ds_load_b128 v[20:23], v27
	ds_load_b128 v[31:34], v24 offset:6720
	ds_load_b128 v[35:38], v24 offset:10080
	;; [unrolled: 1-line block ×3, first 2 shown]
	s_wait_loadcnt_dscnt 0x303
	v_mul_f64_e32 v[25:26], v[22:23], v[6:7]
	s_wait_loadcnt_dscnt 0x202
	v_mul_f64_e32 v[43:44], v[33:34], v[10:11]
	;; [unrolled: 2-line block ×4, first 2 shown]
	v_mul_f64_e32 v[10:11], v[31:32], v[10:11]
	v_mul_f64_e32 v[14:15], v[35:36], v[14:15]
	;; [unrolled: 1-line block ×4, first 2 shown]
	v_fma_f64 v[20:21], v[20:21], v[4:5], -v[25:26]
	v_fma_f64 v[25:26], v[31:32], v[8:9], -v[43:44]
	;; [unrolled: 1-line block ×4, first 2 shown]
	v_fma_f64 v[8:9], v[33:34], v[8:9], v[10:11]
	v_fma_f64 v[10:11], v[37:38], v[12:13], v[14:15]
	;; [unrolled: 1-line block ×4, first 2 shown]
	ds_load_b128 v[4:7], v24
	global_wb scope:SCOPE_SE
	s_wait_dscnt 0x0
	s_barrier_signal -1
	s_barrier_wait -1
	global_inv scope:SCOPE_SE
	v_add_f64_e32 v[37:38], v[4:5], v[20:21]
	v_add_f64_e32 v[14:15], v[25:26], v[31:32]
	;; [unrolled: 1-line block ×3, first 2 shown]
	v_add_f64_e64 v[45:46], v[20:21], -v[35:36]
	v_add_f64_e32 v[18:19], v[8:9], v[10:11]
	v_add_f64_e32 v[43:44], v[6:7], v[22:23]
	;; [unrolled: 1-line block ×3, first 2 shown]
	v_add_f64_e64 v[39:40], v[22:23], -v[12:13]
	v_add_f64_e64 v[41:42], v[8:9], -v[10:11]
	;; [unrolled: 1-line block ×8, first 2 shown]
	v_fma_f64 v[14:15], v[14:15], -0.5, v[4:5]
	v_fma_f64 v[4:5], v[16:17], -0.5, v[4:5]
	v_add_f64_e64 v[16:17], v[25:26], -v[31:32]
	v_fma_f64 v[18:19], v[18:19], -0.5, v[6:7]
	v_add_f64_e32 v[8:9], v[43:44], v[8:9]
	v_fma_f64 v[6:7], v[33:34], -0.5, v[6:7]
	v_add_f64_e64 v[33:34], v[20:21], -v[25:26]
	v_add_f64_e64 v[20:21], v[25:26], -v[20:21]
	v_add_f64_e32 v[25:26], v[37:38], v[25:26]
	v_add_f64_e32 v[22:23], v[22:23], v[55:56]
	v_fma_f64 v[37:38], v[39:40], s[0:1], v[14:15]
	v_fma_f64 v[43:44], v[41:42], s[2:3], v[4:5]
	;; [unrolled: 1-line block ×8, first 2 shown]
	v_add_f64_e32 v[25:26], v[25:26], v[31:32]
	v_add_f64_e32 v[8:9], v[8:9], v[10:11]
	;; [unrolled: 1-line block ×5, first 2 shown]
	v_fma_f64 v[10:11], v[41:42], s[6:7], v[37:38]
	v_fma_f64 v[31:32], v[39:40], s[6:7], v[43:44]
	;; [unrolled: 1-line block ×8, first 2 shown]
	v_add_f64_e32 v[4:5], v[25:26], v[35:36]
	v_add_f64_e32 v[6:7], v[8:9], v[12:13]
	v_mul_lo_u16 v25, 0x89, v61
	v_and_b32_e32 v26, 0xffff, v62
	s_delay_alu instid0(VALU_DEP_2) | instskip(NEXT) | instid1(VALU_DEP_2)
	v_lshrrev_b16 v61, 12, v25
	v_mul_u32_u24_e32 v26, 0x1e0, v26
	s_delay_alu instid0(VALU_DEP_2) | instskip(NEXT) | instid1(VALU_DEP_1)
	v_mul_lo_u16 v25, v61, 30
	v_sub_nc_u16 v25, v30, v25
	s_delay_alu instid0(VALU_DEP_1) | instskip(SKIP_1) | instid1(VALU_DEP_1)
	v_and_b32_e32 v62, 0xff, v25
	v_lshlrev_b32_e32 v25, 4, v63
	v_add3_u32 v25, 0, v26, v25
	v_fma_f64 v[8:9], v[33:34], s[14:15], v[10:11]
	v_fma_f64 v[16:17], v[20:21], s[14:15], v[31:32]
	;; [unrolled: 1-line block ×8, first 2 shown]
	v_lshlrev_b32_e32 v31, 6, v62
	ds_store_b128 v25, v[4:7]
	ds_store_b128 v25, v[8:11] offset:96
	ds_store_b128 v25, v[16:19] offset:192
	;; [unrolled: 1-line block ×4, first 2 shown]
	global_wb scope:SCOPE_SE
	s_wait_dscnt 0x0
	s_barrier_signal -1
	s_barrier_wait -1
	global_inv scope:SCOPE_SE
	s_clause 0x3
	global_load_b128 v[4:7], v31, s[4:5] offset:448
	global_load_b128 v[8:11], v31, s[4:5] offset:464
	;; [unrolled: 1-line block ×4, first 2 shown]
	ds_load_b128 v[20:23], v27
	ds_load_b128 v[31:34], v24 offset:6720
	ds_load_b128 v[35:38], v24 offset:10080
	;; [unrolled: 1-line block ×3, first 2 shown]
	s_wait_loadcnt_dscnt 0x303
	v_mul_f64_e32 v[25:26], v[22:23], v[6:7]
	s_wait_loadcnt_dscnt 0x202
	v_mul_f64_e32 v[43:44], v[33:34], v[10:11]
	;; [unrolled: 2-line block ×3, first 2 shown]
	v_mul_f64_e32 v[6:7], v[20:21], v[6:7]
	s_wait_loadcnt_dscnt 0x0
	v_mul_f64_e32 v[47:48], v[41:42], v[18:19]
	v_mul_f64_e32 v[10:11], v[31:32], v[10:11]
	;; [unrolled: 1-line block ×4, first 2 shown]
	v_fma_f64 v[20:21], v[20:21], v[4:5], -v[25:26]
	v_fma_f64 v[25:26], v[31:32], v[8:9], -v[43:44]
	;; [unrolled: 1-line block ×3, first 2 shown]
	v_fma_f64 v[22:23], v[22:23], v[4:5], v[6:7]
	v_fma_f64 v[35:36], v[39:40], v[16:17], -v[47:48]
	v_fma_f64 v[8:9], v[33:34], v[8:9], v[10:11]
	v_fma_f64 v[10:11], v[37:38], v[12:13], v[14:15]
	;; [unrolled: 1-line block ×3, first 2 shown]
	ds_load_b128 v[4:7], v24
	global_wb scope:SCOPE_SE
	s_wait_dscnt 0x0
	s_barrier_signal -1
	s_barrier_wait -1
	global_inv scope:SCOPE_SE
	v_add_f64_e32 v[37:38], v[4:5], v[20:21]
	v_add_f64_e32 v[14:15], v[25:26], v[31:32]
	v_add_f64_e32 v[43:44], v[6:7], v[22:23]
	v_add_f64_e32 v[16:17], v[20:21], v[35:36]
	v_add_f64_e64 v[45:46], v[20:21], -v[35:36]
	v_add_f64_e32 v[18:19], v[8:9], v[10:11]
	v_add_f64_e32 v[33:34], v[22:23], v[12:13]
	v_add_f64_e64 v[39:40], v[22:23], -v[12:13]
	v_add_f64_e64 v[41:42], v[8:9], -v[10:11]
	;; [unrolled: 1-line block ×8, first 2 shown]
	v_fma_f64 v[14:15], v[14:15], -0.5, v[4:5]
	v_add_f64_e32 v[8:9], v[43:44], v[8:9]
	v_fma_f64 v[4:5], v[16:17], -0.5, v[4:5]
	v_add_f64_e64 v[16:17], v[25:26], -v[31:32]
	v_fma_f64 v[18:19], v[18:19], -0.5, v[6:7]
	v_fma_f64 v[6:7], v[33:34], -0.5, v[6:7]
	v_add_f64_e64 v[33:34], v[20:21], -v[25:26]
	v_add_f64_e64 v[20:21], v[25:26], -v[20:21]
	v_add_f64_e32 v[25:26], v[37:38], v[25:26]
	v_add_f64_e32 v[22:23], v[22:23], v[55:56]
	v_fma_f64 v[37:38], v[39:40], s[0:1], v[14:15]
	v_fma_f64 v[14:15], v[39:40], s[2:3], v[14:15]
	;; [unrolled: 1-line block ×8, first 2 shown]
	v_add_f64_e32 v[33:34], v[33:34], v[47:48]
	v_add_f64_e32 v[47:48], v[20:21], v[49:50]
	;; [unrolled: 1-line block ×5, first 2 shown]
	v_cmp_gt_u32_e64 s0, 0x96, v30
	v_fma_f64 v[10:11], v[41:42], s[6:7], v[37:38]
	v_fma_f64 v[14:15], v[41:42], s[12:13], v[14:15]
	;; [unrolled: 1-line block ×8, first 2 shown]
	v_add_f64_e32 v[4:5], v[20:21], v[35:36]
	v_add_f64_e32 v[6:7], v[8:9], v[12:13]
	v_fma_f64 v[8:9], v[33:34], s[14:15], v[10:11]
	v_fma_f64 v[20:21], v[33:34], s[14:15], v[14:15]
	;; [unrolled: 1-line block ×8, first 2 shown]
	v_and_b32_e32 v25, 0xffff, v61
	v_lshlrev_b32_e32 v26, 4, v62
	s_delay_alu instid0(VALU_DEP_2) | instskip(NEXT) | instid1(VALU_DEP_1)
	v_mul_u32_u24_e32 v25, 0x960, v25
	v_add3_u32 v25, 0, v25, v26
                                        ; implicit-def: $vgpr26_vgpr27
	ds_store_b128 v25, v[4:7]
	ds_store_b128 v25, v[8:11] offset:480
	ds_store_b128 v25, v[12:15] offset:960
	;; [unrolled: 1-line block ×4, first 2 shown]
	global_wb scope:SCOPE_SE
	s_wait_dscnt 0x0
	s_barrier_signal -1
	s_barrier_wait -1
	global_inv scope:SCOPE_SE
	s_and_saveexec_b32 s1, s0
	s_cbranch_execnz .LBB0_24
; %bb.22:
	s_wait_alu 0xfffe
	s_or_b32 exec_lo, exec_lo, s1
	s_and_b32 s0, vcc_lo, s0
	s_wait_alu 0xfffe
	s_and_saveexec_b32 s1, s0
	s_cbranch_execnz .LBB0_25
.LBB0_23:
	s_endpgm
.LBB0_24:
	ds_load_b128 v[4:7], v24
	ds_load_b128 v[8:11], v24 offset:2400
	ds_load_b128 v[12:15], v24 offset:4800
	;; [unrolled: 1-line block ×6, first 2 shown]
	s_wait_alu 0xfffe
	s_or_b32 exec_lo, exec_lo, s1
	s_and_b32 s0, vcc_lo, s0
	s_wait_alu 0xfffe
	s_and_saveexec_b32 s1, s0
	s_cbranch_execz .LBB0_23
.LBB0_25:
	v_mul_u32_u24_e32 v31, 6, v30
	s_mov_b32 s0, 0xe976ee23
	s_mov_b32 s1, 0xbfe11646
	;; [unrolled: 1-line block ×4, first 2 shown]
	v_lshlrev_b32_e32 v51, 4, v31
	s_mov_b32 s7, 0x3fd5d0dc
	s_mov_b32 s6, 0xb247c609
	;; [unrolled: 1-line block ×4, first 2 shown]
	s_clause 0x5
	global_load_b128 v[31:34], v51, s[4:5] offset:2384
	global_load_b128 v[35:38], v51, s[4:5] offset:2432
	;; [unrolled: 1-line block ×6, first 2 shown]
	s_mov_b32 s4, 0x429ad128
	s_mov_b32 s5, 0x3febfeb5
	;; [unrolled: 1-line block ×4, first 2 shown]
	s_wait_loadcnt_dscnt 0x504
	v_mul_f64_e32 v[55:56], v[12:13], v[33:34]
	s_wait_loadcnt_dscnt 0x401
	v_mul_f64_e32 v[57:58], v[0:1], v[37:38]
	s_wait_loadcnt 0x3
	v_mul_f64_e32 v[59:60], v[8:9], v[41:42]
	s_wait_loadcnt_dscnt 0x200
	v_mul_f64_e32 v[61:62], v[24:25], v[45:46]
	v_mul_f64_e32 v[33:34], v[14:15], v[33:34]
	;; [unrolled: 1-line block ×5, first 2 shown]
	s_wait_loadcnt 0x1
	v_mul_f64_e32 v[63:64], v[22:23], v[49:50]
	s_wait_loadcnt 0x0
	v_mul_f64_e32 v[65:66], v[18:19], v[53:54]
	v_mul_f64_e32 v[53:54], v[16:17], v[53:54]
	;; [unrolled: 1-line block ×3, first 2 shown]
	v_fma_f64 v[14:15], v[14:15], v[31:32], v[55:56]
	v_fma_f64 v[2:3], v[2:3], v[35:36], v[57:58]
	;; [unrolled: 1-line block ×4, first 2 shown]
	v_fma_f64 v[12:13], v[12:13], v[31:32], -v[33:34]
	v_fma_f64 v[0:1], v[0:1], v[35:36], -v[37:38]
	;; [unrolled: 1-line block ×6, first 2 shown]
	v_fma_f64 v[18:19], v[18:19], v[51:52], v[53:54]
	v_fma_f64 v[22:23], v[22:23], v[47:48], v[49:50]
	v_add_nc_u32_e32 v64, 0x384, v30
	v_add_nc_u32_e32 v62, 0x258, v30
	;; [unrolled: 1-line block ×3, first 2 shown]
	v_add_f64_e32 v[31:32], v[14:15], v[2:3]
	v_add_f64_e64 v[14:15], v[14:15], -v[2:3]
	v_add_f64_e32 v[33:34], v[10:11], v[26:27]
	v_add_f64_e64 v[10:11], v[10:11], -v[26:27]
	;; [unrolled: 2-line block ×4, first 2 shown]
	v_add_f64_e64 v[39:40], v[20:21], -v[16:17]
	v_add_f64_e32 v[2:3], v[20:21], v[16:17]
	v_add_f64_e32 v[12:13], v[22:23], v[18:19]
	v_add_f64_e64 v[18:19], v[22:23], -v[18:19]
	v_add_f64_e32 v[16:17], v[31:32], v[33:34]
	v_add_f64_e64 v[45:46], v[14:15], -v[10:11]
	;; [unrolled: 2-line block ×3, first 2 shown]
	v_add_f64_e64 v[22:23], v[39:40], -v[0:1]
	v_add_f64_e64 v[41:42], v[37:38], -v[2:3]
	;; [unrolled: 1-line block ×5, first 2 shown]
	v_add_f64_e32 v[49:50], v[39:40], v[0:1]
	v_add_f64_e64 v[39:40], v[8:9], -v[39:40]
	v_add_f64_e64 v[51:52], v[10:11], -v[18:19]
	v_add_f64_e32 v[16:17], v[12:13], v[16:17]
	v_add_f64_e64 v[12:13], v[12:13], -v[31:32]
	v_add_f64_e64 v[31:32], v[31:32], -v[33:34]
	;; [unrolled: 1-line block ×3, first 2 shown]
	v_add_f64_e32 v[20:21], v[2:3], v[20:21]
	v_mul_f64_e32 v[37:38], s[4:5], v[43:44]
	s_wait_alu 0xfffe
	v_mul_f64_e32 v[22:23], s[0:1], v[22:23]
	v_mul_f64_e32 v[35:36], s[2:3], v[41:42]
	;; [unrolled: 1-line block ×4, first 2 shown]
	s_mov_b32 s2, 0x36b3c0b5
	s_mov_b32 s3, 0x3fac98ee
	v_add_f64_e32 v[8:9], v[49:50], v[8:9]
	s_mov_b32 s0, 0x37c3f68c
	s_mov_b32 s1, 0x3fdc38aa
	v_add_f64_e32 v[2:3], v[6:7], v[16:17]
	v_add_f64_e32 v[6:7], v[18:19], v[14:15]
	v_mul_f64_e32 v[18:19], s[4:5], v[45:46]
	s_wait_alu 0xfffe
	v_mul_f64_e32 v[14:15], s[2:3], v[12:13]
	v_add_f64_e32 v[0:1], v[4:5], v[20:21]
	v_mul_f64_e32 v[4:5], s[2:3], v[47:48]
	v_fma_f64 v[41:42], v[39:40], s[6:7], v[22:23]
	v_fma_f64 v[22:23], v[43:44], s[4:5], -v[22:23]
	v_fma_f64 v[12:13], v[12:13], s[2:3], v[24:25]
	v_fma_f64 v[49:50], v[51:52], s[6:7], v[26:27]
	s_mov_b32 s7, 0xbfd5d0dc
	v_fma_f64 v[26:27], v[45:46], s[4:5], -v[26:27]
	s_wait_alu 0xfffe
	v_fma_f64 v[37:38], v[39:40], s[6:7], -v[37:38]
	v_fma_f64 v[24:25], v[31:32], s[14:15], -v[24:25]
	;; [unrolled: 1-line block ×3, first 2 shown]
	s_mov_b32 s15, 0x3fe77f67
	v_mad_co_u64_u32 v[43:44], null, s10, v62, 0
	v_add_nc_u32_e32 v63, 0x2ee, v30
	v_mad_co_u64_u32 v[39:40], null, s10, v61, 0
	v_fma_f64 v[16:17], v[16:17], s[12:13], v[2:3]
	v_add_f64_e32 v[6:7], v[6:7], v[10:11]
	v_fma_f64 v[18:19], v[51:52], s[6:7], -v[18:19]
	s_wait_alu 0xfffe
	v_fma_f64 v[10:11], v[31:32], s[14:15], -v[14:15]
	v_fma_f64 v[14:15], v[47:48], s[2:3], v[35:36]
	v_fma_f64 v[20:21], v[20:21], s[12:13], v[0:1]
	v_fma_f64 v[4:5], v[33:34], s[14:15], -v[4:5]
	v_mad_co_u64_u32 v[47:48], null, s10, v64, 0
	v_add_nc_u32_e32 v60, 0x12c, v30
	v_fma_f64 v[41:42], v[8:9], s[0:1], v[41:42]
	v_fma_f64 v[22:23], v[8:9], s[0:1], v[22:23]
	;; [unrolled: 1-line block ×3, first 2 shown]
	v_mad_co_u64_u32 v[31:32], null, s10, v30, 0
	v_add_f64_e32 v[12:13], v[12:13], v[16:17]
	v_fma_f64 v[37:38], v[6:7], s[0:1], v[49:50]
	v_fma_f64 v[49:50], v[6:7], s[0:1], v[26:27]
	;; [unrolled: 1-line block ×3, first 2 shown]
	v_mov_b32_e32 v7, v48
	v_mad_co_u64_u32 v[35:36], null, s10, v60, 0
	v_add_nc_u32_e32 v59, 0x96, v30
	v_add_f64_e32 v[24:25], v[24:25], v[16:17]
	v_add_f64_e32 v[16:17], v[10:11], v[16:17]
	;; [unrolled: 1-line block ×4, first 2 shown]
	v_mad_co_u64_u32 v[33:34], null, s10, v59, 0
	s_delay_alu instid0(VALU_DEP_1)
	v_mad_co_u64_u32 v[51:52], null, s11, v30, v[32:33]
	v_mov_b32_e32 v32, v36
	v_add_f64_e32 v[52:53], v[53:54], v[20:21]
	v_mov_b32_e32 v36, v44
	v_mad_co_u64_u32 v[45:46], null, s10, v63, 0
	v_mov_b32_e32 v30, v34
	v_mov_b32_e32 v34, v40
	v_mad_co_u64_u32 v[14:15], null, s11, v60, v[32:33]
	v_mov_b32_e32 v32, v51
	s_delay_alu instid0(VALU_DEP_4) | instskip(SKIP_4) | instid1(VALU_DEP_4)
	v_mad_co_u64_u32 v[10:11], null, s11, v59, v[30:31]
	v_mov_b32_e32 v6, v46
	v_mad_co_u64_u32 v[18:19], null, s11, v61, v[34:35]
	v_add_co_u32 v51, vcc_lo, s8, v28
	v_mad_co_u64_u32 v[19:20], null, s11, v62, v[36:37]
	v_mad_co_u64_u32 v[20:21], null, s11, v63, v[6:7]
	;; [unrolled: 1-line block ×3, first 2 shown]
	v_mov_b32_e32 v34, v10
	v_mov_b32_e32 v36, v14
	;; [unrolled: 1-line block ×4, first 2 shown]
	v_add_f64_e32 v[10:11], v[8:9], v[24:25]
	v_add_f64_e64 v[14:15], v[16:17], -v[22:23]
	v_add_f64_e32 v[18:19], v[22:23], v[16:17]
	v_add_f64_e64 v[22:23], v[24:25], -v[8:9]
	v_add_f64_e64 v[26:27], v[12:13], -v[41:42]
	v_add_f64_e32 v[24:25], v[37:38], v[57:58]
	v_mov_b32_e32 v46, v20
	v_add_f64_e64 v[16:17], v[4:5], -v[49:50]
	v_mov_b32_e32 v48, v6
	v_add_f64_e32 v[6:7], v[41:42], v[12:13]
	v_add_f64_e32 v[12:13], v[49:50], v[4:5]
	v_add_f64_e64 v[4:5], v[57:58], -v[37:38]
	v_add_f64_e32 v[20:21], v[55:56], v[52:53]
	v_add_f64_e64 v[8:9], v[52:53], -v[55:56]
	s_wait_alu 0xfffd
	v_add_co_ci_u32_e32 v54, vcc_lo, s9, v29, vcc_lo
	v_lshlrev_b64_e32 v[28:29], 4, v[31:32]
	v_lshlrev_b64_e32 v[30:31], 4, v[33:34]
	;; [unrolled: 1-line block ×6, first 2 shown]
	v_add_co_u32 v28, vcc_lo, v51, v28
	s_wait_alu 0xfffd
	v_add_co_ci_u32_e32 v29, vcc_lo, v54, v29, vcc_lo
	v_add_co_u32 v30, vcc_lo, v51, v30
	s_wait_alu 0xfffd
	v_add_co_ci_u32_e32 v31, vcc_lo, v54, v31, vcc_lo
	;; [unrolled: 3-line block ×4, first 2 shown]
	v_lshlrev_b64_e32 v[40:41], 4, v[47:48]
	v_add_co_u32 v36, vcc_lo, v51, v36
	s_wait_alu 0xfffd
	v_add_co_ci_u32_e32 v37, vcc_lo, v54, v37, vcc_lo
	v_add_co_u32 v38, vcc_lo, v51, v38
	s_wait_alu 0xfffd
	v_add_co_ci_u32_e32 v39, vcc_lo, v54, v39, vcc_lo
	;; [unrolled: 3-line block ×3, first 2 shown]
	s_clause 0x6
	global_store_b128 v[28:29], v[0:3], off
	global_store_b128 v[30:31], v[24:27], off
	;; [unrolled: 1-line block ×7, first 2 shown]
	s_nop 0
	s_sendmsg sendmsg(MSG_DEALLOC_VGPRS)
	s_endpgm
	.section	.rodata,"a",@progbits
	.p2align	6, 0x0
	.amdhsa_kernel fft_rtc_fwd_len1050_factors_2_3_5_5_7_wgs_210_tpt_210_dp_ip_CI_sbrr_dirReg
		.amdhsa_group_segment_fixed_size 0
		.amdhsa_private_segment_fixed_size 0
		.amdhsa_kernarg_size 88
		.amdhsa_user_sgpr_count 2
		.amdhsa_user_sgpr_dispatch_ptr 0
		.amdhsa_user_sgpr_queue_ptr 0
		.amdhsa_user_sgpr_kernarg_segment_ptr 1
		.amdhsa_user_sgpr_dispatch_id 0
		.amdhsa_user_sgpr_private_segment_size 0
		.amdhsa_wavefront_size32 1
		.amdhsa_uses_dynamic_stack 0
		.amdhsa_enable_private_segment 0
		.amdhsa_system_sgpr_workgroup_id_x 1
		.amdhsa_system_sgpr_workgroup_id_y 0
		.amdhsa_system_sgpr_workgroup_id_z 0
		.amdhsa_system_sgpr_workgroup_info 0
		.amdhsa_system_vgpr_workitem_id 0
		.amdhsa_next_free_vgpr 67
		.amdhsa_next_free_sgpr 35
		.amdhsa_reserve_vcc 1
		.amdhsa_float_round_mode_32 0
		.amdhsa_float_round_mode_16_64 0
		.amdhsa_float_denorm_mode_32 3
		.amdhsa_float_denorm_mode_16_64 3
		.amdhsa_fp16_overflow 0
		.amdhsa_workgroup_processor_mode 1
		.amdhsa_memory_ordered 1
		.amdhsa_forward_progress 0
		.amdhsa_round_robin_scheduling 0
		.amdhsa_exception_fp_ieee_invalid_op 0
		.amdhsa_exception_fp_denorm_src 0
		.amdhsa_exception_fp_ieee_div_zero 0
		.amdhsa_exception_fp_ieee_overflow 0
		.amdhsa_exception_fp_ieee_underflow 0
		.amdhsa_exception_fp_ieee_inexact 0
		.amdhsa_exception_int_div_zero 0
	.end_amdhsa_kernel
	.text
.Lfunc_end0:
	.size	fft_rtc_fwd_len1050_factors_2_3_5_5_7_wgs_210_tpt_210_dp_ip_CI_sbrr_dirReg, .Lfunc_end0-fft_rtc_fwd_len1050_factors_2_3_5_5_7_wgs_210_tpt_210_dp_ip_CI_sbrr_dirReg
                                        ; -- End function
	.section	.AMDGPU.csdata,"",@progbits
; Kernel info:
; codeLenInByte = 5880
; NumSgprs: 37
; NumVgprs: 67
; ScratchSize: 0
; MemoryBound: 1
; FloatMode: 240
; IeeeMode: 1
; LDSByteSize: 0 bytes/workgroup (compile time only)
; SGPRBlocks: 4
; VGPRBlocks: 8
; NumSGPRsForWavesPerEU: 37
; NumVGPRsForWavesPerEU: 67
; Occupancy: 16
; WaveLimiterHint : 1
; COMPUTE_PGM_RSRC2:SCRATCH_EN: 0
; COMPUTE_PGM_RSRC2:USER_SGPR: 2
; COMPUTE_PGM_RSRC2:TRAP_HANDLER: 0
; COMPUTE_PGM_RSRC2:TGID_X_EN: 1
; COMPUTE_PGM_RSRC2:TGID_Y_EN: 0
; COMPUTE_PGM_RSRC2:TGID_Z_EN: 0
; COMPUTE_PGM_RSRC2:TIDIG_COMP_CNT: 0
	.text
	.p2alignl 7, 3214868480
	.fill 96, 4, 3214868480
	.type	__hip_cuid_6661d388ebbd5e18,@object ; @__hip_cuid_6661d388ebbd5e18
	.section	.bss,"aw",@nobits
	.globl	__hip_cuid_6661d388ebbd5e18
__hip_cuid_6661d388ebbd5e18:
	.byte	0                               ; 0x0
	.size	__hip_cuid_6661d388ebbd5e18, 1

	.ident	"AMD clang version 19.0.0git (https://github.com/RadeonOpenCompute/llvm-project roc-6.4.0 25133 c7fe45cf4b819c5991fe208aaa96edf142730f1d)"
	.section	".note.GNU-stack","",@progbits
	.addrsig
	.addrsig_sym __hip_cuid_6661d388ebbd5e18
	.amdgpu_metadata
---
amdhsa.kernels:
  - .args:
      - .actual_access:  read_only
        .address_space:  global
        .offset:         0
        .size:           8
        .value_kind:     global_buffer
      - .offset:         8
        .size:           8
        .value_kind:     by_value
      - .actual_access:  read_only
        .address_space:  global
        .offset:         16
        .size:           8
        .value_kind:     global_buffer
      - .actual_access:  read_only
        .address_space:  global
        .offset:         24
        .size:           8
        .value_kind:     global_buffer
      - .offset:         32
        .size:           8
        .value_kind:     by_value
      - .actual_access:  read_only
        .address_space:  global
        .offset:         40
        .size:           8
        .value_kind:     global_buffer
      - .actual_access:  read_only
        .address_space:  global
        .offset:         48
        .size:           8
        .value_kind:     global_buffer
      - .offset:         56
        .size:           4
        .value_kind:     by_value
      - .actual_access:  read_only
        .address_space:  global
        .offset:         64
        .size:           8
        .value_kind:     global_buffer
      - .actual_access:  read_only
        .address_space:  global
        .offset:         72
        .size:           8
        .value_kind:     global_buffer
      - .address_space:  global
        .offset:         80
        .size:           8
        .value_kind:     global_buffer
    .group_segment_fixed_size: 0
    .kernarg_segment_align: 8
    .kernarg_segment_size: 88
    .language:       OpenCL C
    .language_version:
      - 2
      - 0
    .max_flat_workgroup_size: 210
    .name:           fft_rtc_fwd_len1050_factors_2_3_5_5_7_wgs_210_tpt_210_dp_ip_CI_sbrr_dirReg
    .private_segment_fixed_size: 0
    .sgpr_count:     37
    .sgpr_spill_count: 0
    .symbol:         fft_rtc_fwd_len1050_factors_2_3_5_5_7_wgs_210_tpt_210_dp_ip_CI_sbrr_dirReg.kd
    .uniform_work_group_size: 1
    .uses_dynamic_stack: false
    .vgpr_count:     67
    .vgpr_spill_count: 0
    .wavefront_size: 32
    .workgroup_processor_mode: 1
amdhsa.target:   amdgcn-amd-amdhsa--gfx1201
amdhsa.version:
  - 1
  - 2
...

	.end_amdgpu_metadata
